;; amdgpu-corpus repo=ROCm/rocFFT kind=compiled arch=gfx950 opt=O3
	.text
	.amdgcn_target "amdgcn-amd-amdhsa--gfx950"
	.amdhsa_code_object_version 6
	.protected	fft_rtc_back_len336_factors_7_2_4_6_wgs_252_tpt_42_dim3_dp_op_CI_CI_sbcr_dirReg_intrinsicReadWrite ; -- Begin function fft_rtc_back_len336_factors_7_2_4_6_wgs_252_tpt_42_dim3_dp_op_CI_CI_sbcr_dirReg_intrinsicReadWrite
	.globl	fft_rtc_back_len336_factors_7_2_4_6_wgs_252_tpt_42_dim3_dp_op_CI_CI_sbcr_dirReg_intrinsicReadWrite
	.p2align	8
	.type	fft_rtc_back_len336_factors_7_2_4_6_wgs_252_tpt_42_dim3_dp_op_CI_CI_sbcr_dirReg_intrinsicReadWrite,@function
fft_rtc_back_len336_factors_7_2_4_6_wgs_252_tpt_42_dim3_dp_op_CI_CI_sbcr_dirReg_intrinsicReadWrite: ; @fft_rtc_back_len336_factors_7_2_4_6_wgs_252_tpt_42_dim3_dp_op_CI_CI_sbcr_dirReg_intrinsicReadWrite
; %bb.0:
	s_load_dwordx4 s[4:7], s[0:1], 0x8
	s_mov_b32 s3, 0
	s_mov_b64 s[22:23], 0
	s_waitcnt lgkmcnt(0)
	s_load_dwordx2 s[8:9], s[4:5], 0x8
	s_waitcnt lgkmcnt(0)
	s_add_u32 s10, s8, -1
	s_addc_u32 s11, s9, -1
	s_add_u32 s12, 0, 0xaaa80000
	s_addc_u32 s13, 0, 0xaa
	s_mul_hi_u32 s15, s12, -6
	s_add_i32 s13, s13, 0x2aaaaa00
	s_sub_i32 s15, s15, s12
	s_mul_i32 s18, s13, -6
	s_mul_i32 s14, s12, -6
	s_add_i32 s15, s15, s18
	s_mul_hi_u32 s16, s13, s14
	s_mul_i32 s17, s13, s14
	s_mul_i32 s19, s12, s15
	s_mul_hi_u32 s14, s12, s14
	s_mul_hi_u32 s18, s12, s15
	s_add_u32 s14, s14, s19
	s_addc_u32 s18, 0, s18
	s_add_u32 s14, s14, s17
	s_mul_hi_u32 s19, s13, s15
	s_addc_u32 s14, s18, s16
	s_addc_u32 s16, s19, 0
	s_mul_i32 s15, s13, s15
	s_add_u32 s14, s14, s15
	v_mov_b32_e32 v1, s14
	s_addc_u32 s15, 0, s16
	v_add_co_u32_e32 v1, vcc, s12, v1
	s_cmp_lg_u64 vcc, 0
	s_addc_u32 s12, s13, s15
	v_readfirstlane_b32 s15, v1
	s_mul_i32 s14, s10, s12
	s_mul_hi_u32 s16, s10, s15
	s_mul_hi_u32 s13, s10, s12
	s_add_u32 s14, s16, s14
	s_addc_u32 s13, 0, s13
	s_mul_hi_u32 s17, s11, s15
	s_mul_i32 s15, s11, s15
	s_add_u32 s14, s14, s15
	s_mul_hi_u32 s16, s11, s12
	s_addc_u32 s13, s13, s17
	s_addc_u32 s14, s16, 0
	s_mul_i32 s12, s11, s12
	s_add_u32 s12, s13, s12
	s_addc_u32 s13, 0, s14
	s_add_u32 s14, s12, 1
	s_addc_u32 s15, s13, 0
	s_add_u32 s16, s12, 2
	s_mul_i32 s18, s13, 6
	s_mul_hi_u32 s19, s12, 6
	s_addc_u32 s17, s13, 0
	s_add_i32 s19, s19, s18
	s_mul_i32 s18, s12, 6
	v_mov_b32_e32 v1, s18
	v_sub_co_u32_e32 v1, vcc, s10, v1
	s_cmp_lg_u64 vcc, 0
	s_subb_u32 s10, s11, s19
	v_subrev_co_u32_e32 v2, vcc, 6, v1
	s_cmp_lg_u64 vcc, 0
	s_subb_u32 s11, s10, 0
	v_readfirstlane_b32 s18, v2
	s_cmp_gt_u32 s18, 5
	s_cselect_b32 s18, -1, 0
	s_cmp_eq_u32 s11, 0
	s_cselect_b32 s11, s18, -1
	s_cmp_lg_u32 s11, 0
	s_cselect_b32 s11, s16, s14
	s_cselect_b32 s14, s17, s15
	v_readfirstlane_b32 s15, v1
	s_cmp_gt_u32 s15, 5
	s_cselect_b32 s15, -1, 0
	s_cmp_eq_u32 s10, 0
	s_cselect_b32 s10, s15, -1
	s_cmp_lg_u32 s10, 0
	s_cselect_b32 s11, s11, s12
	s_cselect_b32 s10, s14, s13
	s_add_u32 s16, s11, 1
	s_addc_u32 s17, s10, 0
	v_mov_b64_e32 v[2:3], s[16:17]
	v_cmp_lt_u64_e32 vcc, s[2:3], v[2:3]
	s_cbranch_vccnz .LBB0_2
; %bb.1:
	v_cvt_f32_u32_e32 v1, s16
	s_sub_i32 s10, 0, s16
	s_mov_b32 s23, s3
	v_rcp_iflag_f32_e32 v1, v1
	s_nop 0
	v_mul_f32_e32 v1, 0x4f7ffffe, v1
	v_cvt_u32_f32_e32 v1, v1
	s_nop 0
	v_readfirstlane_b32 s11, v1
	s_mul_i32 s10, s10, s11
	s_mul_hi_u32 s10, s11, s10
	s_add_i32 s11, s11, s10
	s_mul_hi_u32 s10, s2, s11
	s_mul_i32 s12, s10, s16
	s_sub_i32 s12, s2, s12
	s_add_i32 s11, s10, 1
	s_sub_i32 s13, s12, s16
	s_cmp_ge_u32 s12, s16
	s_cselect_b32 s10, s11, s10
	s_cselect_b32 s12, s13, s12
	s_add_i32 s11, s10, 1
	s_cmp_ge_u32 s12, s16
	s_cselect_b32 s22, s11, s10
.LBB0_2:
	s_load_dwordx2 s[14:15], s[4:5], 0x10
	s_load_dwordx2 s[20:21], s[6:7], 0x8
	s_mov_b64 s[12:13], s[22:23]
	s_waitcnt lgkmcnt(0)
	v_mov_b64_e32 v[2:3], s[14:15]
	v_cmp_lt_u64_e32 vcc, s[22:23], v[2:3]
	s_cbranch_vccnz .LBB0_4
; %bb.3:
	v_cvt_f32_u32_e32 v1, s14
	s_sub_i32 s4, 0, s14
	v_rcp_iflag_f32_e32 v1, v1
	s_nop 0
	v_mul_f32_e32 v1, 0x4f7ffffe, v1
	v_cvt_u32_f32_e32 v1, v1
	s_nop 0
	v_readfirstlane_b32 s5, v1
	s_mul_i32 s4, s4, s5
	s_mul_hi_u32 s4, s5, s4
	s_add_i32 s5, s5, s4
	s_mul_hi_u32 s4, s22, s5
	s_mul_i32 s4, s4, s14
	s_sub_i32 s4, s22, s4
	s_sub_i32 s5, s4, s14
	s_cmp_ge_u32 s4, s14
	s_cselect_b32 s4, s5, s4
	s_sub_i32 s5, s4, s14
	s_cmp_ge_u32 s4, s14
	s_cselect_b32 s12, s5, s4
.LBB0_4:
	s_mul_i32 s4, s14, s17
	s_mul_hi_u32 s5, s14, s16
	s_add_i32 s4, s5, s4
	s_mul_i32 s5, s15, s16
	s_load_dwordx2 s[10:11], s[0:1], 0x50
	s_add_i32 s25, s4, s5
	s_load_dwordx2 s[18:19], s[6:7], 0x0
	s_load_dwordx2 s[4:5], s[6:7], 0x10
	s_mul_i32 s24, s14, s16
	v_mov_b64_e32 v[2:3], s[24:25]
	v_cmp_lt_u64_e32 vcc, s[2:3], v[2:3]
	s_mov_b64 s[14:15], 0
	s_cbranch_vccnz .LBB0_6
; %bb.5:
	v_cvt_f32_u32_e32 v1, s24
	s_sub_i32 s3, 0, s24
	v_rcp_iflag_f32_e32 v1, v1
	s_nop 0
	v_mul_f32_e32 v1, 0x4f7ffffe, v1
	v_cvt_u32_f32_e32 v1, v1
	s_waitcnt lgkmcnt(0)
	v_readfirstlane_b32 s5, v1
	s_mul_i32 s3, s3, s5
	s_mul_hi_u32 s3, s5, s3
	s_add_i32 s5, s5, s3
	s_mul_hi_u32 s3, s2, s5
	s_mul_i32 s13, s3, s24
	s_sub_i32 s13, s2, s13
	s_add_i32 s5, s3, 1
	s_sub_i32 s14, s13, s24
	s_cmp_ge_u32 s13, s24
	s_cselect_b32 s3, s5, s3
	s_cselect_b32 s13, s14, s13
	s_add_i32 s5, s3, 1
	s_cmp_ge_u32 s13, s24
	s_cselect_b32 s14, s5, s3
.LBB0_6:
	s_mul_i32 s3, s22, s17
	s_waitcnt lgkmcnt(0)
	s_mul_hi_u32 s5, s22, s16
	s_add_i32 s5, s5, s3
	s_mul_i32 s3, s22, s16
	s_sub_u32 s16, s2, s3
	s_subb_u32 s2, 0, s5
	s_mul_i32 s17, s2, 6
	s_mul_hi_u32 s2, s16, 6
	s_add_i32 s13, s2, s17
	s_load_dwordx2 s[2:3], s[6:7], 0x18
	s_mul_i32 s15, s16, 6
	s_waitcnt lgkmcnt(0)
	s_mul_i32 s3, s20, s15
	s_mul_i32 s4, s4, s12
	s_add_u32 s3, s4, s3
	s_mul_i32 s2, s2, s14
	v_mul_u32_u24_e32 v1, 0x2aab, v0
	s_add_u32 s19, s2, s3
	v_lshrrev_b32_e32 v1, 16, v1
	v_mul_lo_u16_e32 v2, 6, v1
	s_add_u32 s2, s15, 6
	v_sub_u16_e32 v58, v0, v2
	s_addc_u32 s3, s13, 0
	v_mov_b64_e32 v[2:3], s[8:9]
	v_mov_b32_e32 v59, 0
	v_cmp_gt_u64_e32 vcc, s[2:3], v[2:3]
	v_cmp_le_u64_e64 s[2:3], s[2:3], v[2:3]
	v_mad_u64_u32 v[2:3], s[4:5], s16, 6, v[58:59]
	v_mad_u64_u32 v[60:61], s[4:5], s20, v58, 0
	v_add_u32_e32 v3, s17, v3
	v_cmp_gt_u64_e64 s[4:5], s[8:9], v[2:3]
	v_mov_b64_e32 v[12:13], 0
	s_or_b64 s[6:7], s[2:3], s[4:5]
	v_mov_b64_e32 v[4:5], v[12:13]
	v_mov_b64_e32 v[2:3], v[12:13]
	s_and_saveexec_b64 s[8:9], s[6:7]
	s_cbranch_execz .LBB0_8
; %bb.7:
	v_mul_lo_u32 v2, s18, v1
	v_add3_u32 v2, s19, v60, v2
	v_mov_b32_e32 v3, v59
	v_lshl_add_u64 v[2:3], v[2:3], 4, s[10:11]
	global_load_dwordx4 v[2:5], v[2:3], off
.LBB0_8:
	s_or_b64 exec, exec, s[8:9]
	v_mov_b64_e32 v[10:11], v[12:13]
	s_and_saveexec_b64 s[8:9], s[6:7]
	s_cbranch_execz .LBB0_10
; %bb.9:
	v_add_u32_e32 v6, 48, v1
	v_mul_lo_u32 v6, s18, v6
	v_add3_u32 v6, s19, v60, v6
	v_mov_b32_e32 v7, 0
	v_lshl_add_u64 v[6:7], v[6:7], 4, s[10:11]
	global_load_dwordx4 v[10:13], v[6:7], off
.LBB0_10:
	s_or_b64 exec, exec, s[8:9]
	v_mov_b64_e32 v[16:17], 0
	v_mov_b64_e32 v[20:21], v[16:17]
	;; [unrolled: 1-line block ×3, first 2 shown]
	s_and_saveexec_b64 s[8:9], s[6:7]
	s_cbranch_execz .LBB0_12
; %bb.11:
	v_add_u32_e32 v6, 0x60, v1
	v_mul_lo_u32 v6, s18, v6
	v_add3_u32 v6, s19, v60, v6
	v_mov_b32_e32 v7, 0
	v_lshl_add_u64 v[6:7], v[6:7], 4, s[10:11]
	global_load_dwordx4 v[18:21], v[6:7], off
.LBB0_12:
	s_or_b64 exec, exec, s[8:9]
	v_mov_b64_e32 v[14:15], v[16:17]
	s_and_saveexec_b64 s[8:9], s[6:7]
	s_cbranch_execz .LBB0_14
; %bb.13:
	v_add_u32_e32 v6, 0x90, v1
	v_mul_lo_u32 v6, s18, v6
	v_add3_u32 v6, s19, v60, v6
	v_mov_b32_e32 v7, 0
	v_lshl_add_u64 v[6:7], v[6:7], 4, s[10:11]
	global_load_dwordx4 v[14:17], v[6:7], off
.LBB0_14:
	s_or_b64 exec, exec, s[8:9]
	v_mov_b64_e32 v[36:37], 0
	v_mov_b64_e32 v[32:33], v[36:37]
	;; [unrolled: 1-line block ×3, first 2 shown]
	s_and_saveexec_b64 s[8:9], s[6:7]
	s_cbranch_execz .LBB0_16
; %bb.15:
	v_or_b32_e32 v6, 0xc0, v1
	v_mul_lo_u32 v6, s18, v6
	v_add3_u32 v6, s19, v60, v6
	v_mov_b32_e32 v7, 0
	v_lshl_add_u64 v[6:7], v[6:7], 4, s[10:11]
	global_load_dwordx4 v[30:33], v[6:7], off
.LBB0_16:
	s_or_b64 exec, exec, s[8:9]
	v_mov_b64_e32 v[34:35], v[36:37]
	s_and_saveexec_b64 s[8:9], s[6:7]
	s_cbranch_execz .LBB0_18
; %bb.17:
	v_add_u32_e32 v6, 0xf0, v1
	v_mul_lo_u32 v6, s18, v6
	v_add3_u32 v6, s19, v60, v6
	v_mov_b32_e32 v7, 0
	v_lshl_add_u64 v[6:7], v[6:7], 4, s[10:11]
	global_load_dwordx4 v[34:37], v[6:7], off
.LBB0_18:
	s_or_b64 exec, exec, s[8:9]
	v_mov_b64_e32 v[8:9], 0
	v_mov_b64_e32 v[48:49], v[8:9]
	;; [unrolled: 1-line block ×3, first 2 shown]
	s_and_saveexec_b64 s[8:9], s[6:7]
	s_cbranch_execz .LBB0_20
; %bb.19:
	v_add_u32_e32 v6, 0x120, v1
	v_mul_lo_u32 v6, s18, v6
	v_add3_u32 v6, s19, v60, v6
	v_mov_b32_e32 v7, 0
	v_lshl_add_u64 v[6:7], v[6:7], 4, s[10:11]
	global_load_dwordx4 v[46:49], v[6:7], off
.LBB0_20:
	s_or_b64 exec, exec, s[8:9]
	v_cmp_lt_u32_e64 s[6:7], 35, v0
	v_cmp_gt_u32_e64 s[8:9], 36, v0
	v_cndmask_b32_e64 v7, 0, 1, s[4:5]
	s_or_b64 s[2:3], s[6:7], s[2:3]
	v_cndmask_b32_e64 v6, 0, 1, s[8:9]
	v_cndmask_b32_e64 v6, v7, v6, s[2:3]
	v_and_b32_e32 v6, 1, v6
	v_add_u32_e32 v59, 42, v1
	v_cmp_eq_u32_e64 s[2:3], 1, v6
	v_mov_b64_e32 v[6:7], v[8:9]
	s_and_saveexec_b64 s[4:5], s[2:3]
	s_cbranch_execz .LBB0_22
; %bb.21:
	v_mul_lo_u32 v6, s18, v59
	v_add3_u32 v6, s19, v60, v6
	v_mov_b32_e32 v7, 0
	v_lshl_add_u64 v[6:7], v[6:7], 4, s[10:11]
	global_load_dwordx4 v[6:9], v[6:7], off
.LBB0_22:
	s_or_b64 exec, exec, s[4:5]
	v_mov_b64_e32 v[24:25], 0
	v_mov_b64_e32 v[28:29], v[24:25]
	;; [unrolled: 1-line block ×3, first 2 shown]
	s_and_saveexec_b64 s[4:5], s[2:3]
	s_cbranch_execz .LBB0_24
; %bb.23:
	v_add_u32_e32 v22, 0x5a, v1
	v_mul_lo_u32 v22, s18, v22
	v_add3_u32 v22, s19, v60, v22
	v_mov_b32_e32 v23, 0
	v_lshl_add_u64 v[22:23], v[22:23], 4, s[10:11]
	global_load_dwordx4 v[26:29], v[22:23], off
.LBB0_24:
	s_or_b64 exec, exec, s[4:5]
	v_mov_b64_e32 v[22:23], v[24:25]
	s_and_saveexec_b64 s[4:5], s[2:3]
	s_cbranch_execz .LBB0_26
; %bb.25:
	v_add_u32_e32 v22, 0x8a, v1
	v_mul_lo_u32 v22, s18, v22
	v_add3_u32 v22, s19, v60, v22
	v_mov_b32_e32 v23, 0
	v_lshl_add_u64 v[22:23], v[22:23], 4, s[10:11]
	global_load_dwordx4 v[22:25], v[22:23], off
.LBB0_26:
	s_or_b64 exec, exec, s[4:5]
	v_mov_b64_e32 v[40:41], 0
	v_mov_b64_e32 v[44:45], v[40:41]
	;; [unrolled: 1-line block ×3, first 2 shown]
	s_and_saveexec_b64 s[4:5], s[2:3]
	s_cbranch_execz .LBB0_28
; %bb.27:
	v_add_u32_e32 v38, 0xba, v1
	v_mul_lo_u32 v38, s18, v38
	v_add3_u32 v38, s19, v60, v38
	v_mov_b32_e32 v39, 0
	v_lshl_add_u64 v[38:39], v[38:39], 4, s[10:11]
	global_load_dwordx4 v[42:45], v[38:39], off
.LBB0_28:
	s_or_b64 exec, exec, s[4:5]
	v_mov_b64_e32 v[38:39], v[40:41]
	s_and_saveexec_b64 s[4:5], s[2:3]
	s_cbranch_execz .LBB0_30
; %bb.29:
	v_add_u32_e32 v38, 0xea, v1
	v_mul_lo_u32 v38, s18, v38
	v_add3_u32 v38, s19, v60, v38
	v_mov_b32_e32 v39, 0
	v_lshl_add_u64 v[38:39], v[38:39], 4, s[10:11]
	global_load_dwordx4 v[38:41], v[38:39], off
.LBB0_30:
	s_or_b64 exec, exec, s[4:5]
	s_load_dwordx2 s[4:5], s[0:1], 0x18
	v_mov_b64_e32 v[56:57], 0
	v_mov_b64_e32 v[52:53], v[56:57]
	;; [unrolled: 1-line block ×3, first 2 shown]
	s_and_saveexec_b64 s[6:7], s[2:3]
	s_cbranch_execz .LBB0_32
; %bb.31:
	v_add_u32_e32 v50, 0x11a, v1
	v_mul_lo_u32 v50, s18, v50
	v_add3_u32 v50, s19, v60, v50
	v_mov_b32_e32 v51, 0
	v_lshl_add_u64 v[50:51], v[50:51], 4, s[10:11]
	global_load_dwordx4 v[50:53], v[50:51], off
.LBB0_32:
	s_or_b64 exec, exec, s[6:7]
	s_load_dwordx2 s[16:17], s[0:1], 0x0
	v_mov_b64_e32 v[54:55], v[56:57]
	s_and_saveexec_b64 s[6:7], s[2:3]
	s_cbranch_execz .LBB0_34
; %bb.33:
	v_add_u32_e32 v54, 0x14a, v1
	v_mul_lo_u32 v54, s18, v54
	v_add3_u32 v54, s19, v60, v54
	v_mov_b32_e32 v55, 0
	v_lshl_add_u64 v[54:55], v[54:55], 4, s[10:11]
	global_load_dwordx4 v[54:57], v[54:55], off
.LBB0_34:
	s_or_b64 exec, exec, s[6:7]
	s_waitcnt vmcnt(0)
	v_add_f64 v[60:61], v[10:11], v[46:47]
	v_add_f64 v[64:65], v[10:11], -v[46:47]
	v_add_f64 v[46:47], v[18:19], v[34:35]
	v_add_f64 v[62:63], v[12:13], v[48:49]
	v_add_f64 v[66:67], v[20:21], v[36:37]
	v_add_f64 v[18:19], v[18:19], -v[34:35]
	v_add_f64 v[34:35], v[14:15], v[30:31]
	v_add_f64 v[10:11], v[46:47], v[60:61]
	v_add_f64 v[20:21], v[20:21], -v[36:37]
	v_add_f64 v[36:37], v[16:17], v[32:33]
	v_add_f64 v[70:71], v[42:43], v[38:39]
	v_add_f64 v[74:75], v[38:39], -v[42:43]
	v_add_f64 v[38:39], v[34:35], v[10:11]
	v_add_f64 v[10:11], v[66:67], v[62:63]
	v_add_f64 v[72:73], v[44:45], v[40:41]
	v_add_f64 v[76:77], v[40:41], -v[44:45]
	v_add_f64 v[40:41], v[36:37], v[10:11]
	v_add_f64 v[10:11], v[2:3], v[38:39]
	s_mov_b32 s24, 0xaaaaaaaa
	v_add_f64 v[48:49], v[12:13], -v[48:49]
	v_add_f64 v[14:15], v[30:31], -v[14:15]
	;; [unrolled: 1-line block ×3, first 2 shown]
	v_add_f64 v[12:13], v[4:5], v[40:41]
	s_mov_b32 s25, 0xbff2aaaa
	v_mov_b64_e32 v[2:3], v[10:11]
	s_mov_b32 s6, 0x36b3c0b5
	s_mov_b32 s28, 0xe976ee23
	;; [unrolled: 1-line block ×3, first 2 shown]
	v_add_f64 v[30:31], v[26:27], v[54:55]
	v_add_f64 v[26:27], v[26:27], -v[54:55]
	v_add_f64 v[68:69], v[24:25], v[52:53]
	v_add_f64 v[24:25], v[24:25], -v[52:53]
	v_fmac_f64_e32 v[2:3], s[24:25], v[38:39]
	v_mov_b64_e32 v[4:5], v[12:13]
	v_add_f64 v[38:39], v[46:47], -v[60:61]
	v_add_f64 v[52:53], v[34:35], -v[46:47]
	;; [unrolled: 1-line block ×5, first 2 shown]
	s_mov_b32 s7, 0x3fac98ee
	s_mov_b32 s29, 0x3fe11646
	s_mov_b32 s8, 0x429ad128
	s_mov_b32 s26, 0x5476071b
	v_add_f64 v[36:37], v[62:63], -v[36:37]
	s_mov_b32 s11, 0x3fe948f6
	s_mov_b32 s18, 0xb247c609
	v_add_f64 v[32:33], v[28:29], v[56:57]
	v_add_f64 v[28:29], v[28:29], -v[56:57]
	v_add_f64 v[56:57], v[22:23], v[50:51]
	v_add_f64 v[22:23], v[22:23], -v[50:51]
	v_fmac_f64_e32 v[4:5], s[24:25], v[40:41]
	v_add_f64 v[50:51], v[66:67], -v[62:63]
	v_add_f64 v[40:41], v[14:15], v[18:19]
	v_add_f64 v[18:19], v[18:19], -v[64:65]
	v_add_f64 v[44:45], v[16:17], v[20:21]
	v_add_f64 v[20:21], v[20:21], -v[48:49]
	v_mul_f64 v[80:81], v[42:43], s[28:29]
	v_mul_f64 v[82:83], v[46:47], s[28:29]
	s_mov_b32 s9, 0xbfebfeb5
	s_mov_b32 s27, 0x3fe77f67
	v_mul_f64 v[42:43], v[54:55], s[6:7]
	s_mov_b32 s2, 0x37c3f68c
	v_add_f64 v[34:35], v[60:61], -v[34:35]
	v_add_f64 v[60:61], v[64:65], -v[14:15]
	v_mul_f64 v[36:37], v[36:37], s[10:11]
	s_mov_b32 s23, 0xbfe77f67
	s_mov_b32 s22, s26
	;; [unrolled: 1-line block ×3, first 2 shown]
	v_add_f64 v[66:67], v[40:41], v[64:65]
	v_mul_f64 v[40:41], v[52:53], s[6:7]
	v_fma_f64 v[42:43], v[50:51], s[26:27], -v[42:43]
	s_mov_b32 s3, 0xbfdc38aa
	v_fma_f64 v[84:85], v[18:19], s[8:9], -v[80:81]
	v_fma_f64 v[86:87], v[20:21], s[8:9], -v[82:83]
	v_add_f64 v[62:63], v[48:49], -v[16:17]
	v_mul_f64 v[34:35], v[34:35], s[10:11]
	v_mul_f64 v[16:17], v[20:21], s[8:9]
	v_fma_f64 v[20:21], v[50:51], s[22:23], -v[36:37]
	v_fmac_f64_e32 v[36:37], s[6:7], v[54:55]
	v_fmac_f64_e32 v[80:81], s[18:19], v[60:61]
	v_add_f64 v[78:79], v[44:45], v[48:49]
	v_fma_f64 v[40:41], v[38:39], s[26:27], -v[40:41]
	v_add_f64 v[46:47], v[42:43], v[4:5]
	v_mul_f64 v[14:15], v[18:19], s[8:9]
	v_fma_f64 v[18:19], v[38:39], s[22:23], -v[34:35]
	s_mov_b32 s21, 0x3fd5d0dc
	s_mov_b32 s20, s18
	v_add_f64 v[20:21], v[20:21], v[4:5]
	v_fmac_f64_e32 v[34:35], s[6:7], v[52:53]
	v_fmac_f64_e32 v[82:83], s[18:19], v[62:63]
	v_add_f64 v[4:5], v[36:37], v[4:5]
	v_fmac_f64_e32 v[80:81], s[2:3], v[66:67]
	v_add_f64 v[44:45], v[40:41], v[2:3]
	v_fma_f64 v[38:39], v[60:61], s[20:21], -v[14:15]
	v_fma_f64 v[48:49], v[62:63], s[20:21], -v[16:17]
	v_add_f64 v[18:19], v[18:19], v[2:3]
	v_add_f64 v[2:3], v[34:35], v[2:3]
	v_fmac_f64_e32 v[82:83], s[2:3], v[78:79]
	v_add_f64 v[54:55], v[4:5], -v[80:81]
	v_add_f64 v[62:63], v[80:81], v[4:5]
	v_add_f64 v[4:5], v[68:69], v[32:33]
	v_fmac_f64_e32 v[38:39], s[2:3], v[66:67]
	v_add_f64 v[52:53], v[82:83], v[2:3]
	v_add_f64 v[60:61], v[2:3], -v[82:83]
	v_add_f64 v[2:3], v[56:57], v[30:31]
	v_add_f64 v[4:5], v[72:73], v[4:5]
	v_fmac_f64_e32 v[84:85], s[2:3], v[66:67]
	v_fmac_f64_e32 v[48:49], s[2:3], v[78:79]
	v_add_f64 v[16:17], v[20:21], -v[38:39]
	v_add_f64 v[50:51], v[38:39], v[20:21]
	v_add_f64 v[2:3], v[70:71], v[2:3]
	;; [unrolled: 1-line block ×3, first 2 shown]
	v_add_f64 v[64:65], v[72:73], -v[68:69]
	v_add_f64 v[8:9], v[74:75], -v[22:23]
	v_add_f64 v[42:43], v[84:85], v[46:47]
	v_add_f64 v[46:47], v[46:47], -v[84:85]
	v_add_f64 v[14:15], v[48:49], v[18:19]
	;; [unrolled: 2-line block ×3, first 2 shown]
	v_add_f64 v[34:35], v[56:57], -v[30:31]
	v_add_f64 v[36:37], v[70:71], -v[56:57]
	;; [unrolled: 1-line block ×3, first 2 shown]
	v_add_f64 v[6:7], v[74:75], v[22:23]
	v_add_f64 v[66:67], v[22:23], -v[26:27]
	v_add_f64 v[22:23], v[76:77], v[24:25]
	v_add_f64 v[38:39], v[76:77], -v[24:25]
	v_add_f64 v[68:69], v[24:25], -v[28:29]
	v_mul_f64 v[24:25], v[8:9], s[28:29]
	v_fma_f64 v[84:85], s[24:25], v[4:5], v[20:21]
	v_mul_f64 v[4:5], v[64:65], s[6:7]
	v_fmac_f64_e32 v[86:87], s[2:3], v[78:79]
	v_add_f64 v[78:79], v[6:7], v[26:27]
	v_add_f64 v[80:81], v[22:23], v[28:29]
	v_mul_f64 v[22:23], v[38:39], s[28:29]
	v_fma_f64 v[4:5], v[56:57], s[26:27], -v[4:5]
	v_fma_f64 v[38:39], v[66:67], s[8:9], -v[24:25]
	v_fma_f64 v[82:83], s[24:25], v[2:3], v[18:19]
	v_add_f64 v[8:9], v[4:5], v[84:85]
	v_fmac_f64_e32 v[38:39], s[2:3], v[78:79]
	s_movk_i32 s24, 0x2a0
	v_add_f64 v[4:5], v[38:39], v[8:9]
	v_add_f64 v[8:9], v[8:9], -v[38:39]
	v_mad_u32_u24 v38, v1, s24, 0
	v_lshl_add_u32 v39, v58, 4, v38
	ds_write_b128 v39, v[10:13]
	v_add_f64 v[10:11], v[30:31], -v[70:71]
	v_add_f64 v[12:13], v[32:33], -v[72:73]
	v_mul_f64 v[10:11], v[10:11], s[10:11]
	v_mul_f64 v[2:3], v[36:37], s[6:7]
	v_add_f64 v[26:27], v[26:27], -v[74:75]
	v_fma_f64 v[32:33], s[6:7], v[36:37], v[10:11]
	v_mul_f64 v[12:13], v[12:13], s[10:11]
	v_mul_f64 v[36:37], v[66:67], s[8:9]
	v_add_f64 v[40:41], v[44:45], -v[86:87]
	v_add_f64 v[44:45], v[86:87], v[44:45]
	v_fma_f64 v[2:3], v[34:35], s[26:27], -v[2:3]
	v_fma_f64 v[86:87], v[68:69], s[8:9], -v[22:23]
	;; [unrolled: 1-line block ×4, first 2 shown]
	v_fmac_f64_e32 v[12:13], s[6:7], v[64:65]
	v_fma_f64 v[30:31], s[18:19], v[26:27], v[24:25]
	v_fma_f64 v[24:25], v[26:27], s[20:21], -v[36:37]
	v_mul_f64 v[26:27], v[68:69], s[8:9]
	s_waitcnt lgkmcnt(0)
	s_load_dwordx8 s[4:11], s[4:5], 0x0
	v_add_f64 v[28:29], v[28:29], -v[76:77]
	v_fmac_f64_e32 v[22:23], s[18:19], v[28:29]
	v_fma_f64 v[26:27], v[28:29], s[20:21], -v[26:27]
	v_add_f64 v[6:7], v[2:3], v[82:83]
	v_fmac_f64_e32 v[86:87], s[2:3], v[80:81]
	v_add_f64 v[32:33], v[32:33], v[82:83]
	v_add_f64 v[28:29], v[10:11], v[82:83]
	;; [unrolled: 1-line block ×4, first 2 shown]
	v_fmac_f64_e32 v[30:31], s[2:3], v[78:79]
	v_fmac_f64_e32 v[24:25], s[2:3], v[78:79]
	;; [unrolled: 1-line block ×4, first 2 shown]
	v_add_f64 v[2:3], v[6:7], -v[86:87]
	v_add_f64 v[6:7], v[86:87], v[6:7]
	v_add_f64 v[10:11], v[22:23], v[32:33]
	v_add_f64 v[12:13], v[36:37], -v[30:31]
	ds_write_b128 v39, v[14:17] offset:192
	v_add_f64 v[14:15], v[26:27], v[28:29]
	v_add_f64 v[16:17], v[34:35], -v[24:25]
	v_cmp_gt_u32_e64 s[2:3], 36, v0
	ds_write_b128 v39, v[52:55] offset:96
	ds_write_b128 v39, v[40:43] offset:288
	;; [unrolled: 1-line block ×5, first 2 shown]
	s_and_saveexec_b64 s[18:19], s[2:3]
	s_cbranch_execz .LBB0_36
; %bb.35:
	v_add_f64 v[42:43], v[30:31], v[36:37]
	v_add_f64 v[40:41], v[32:33], -v[22:23]
	v_add_f64 v[24:25], v[24:25], v[34:35]
	v_add_f64 v[22:23], v[28:29], -v[26:27]
	ds_write_b128 v39, v[18:21] offset:28224
	ds_write_b128 v39, v[10:13] offset:28320
	;; [unrolled: 1-line block ×7, first 2 shown]
.LBB0_36:
	s_or_b64 exec, exec, s[18:19]
	v_mul_lo_u16_e32 v53, 37, v1
	v_mov_b32_e32 v30, 0xc24
	v_lshrrev_b16_e32 v72, 8, v53
	v_mad_legacy_u16 v30, v1, 37, v30
	v_add_u16_e32 v31, 0x54, v1
	v_mul_lo_u16_e32 v18, 7, v72
	v_mul_lo_u16_e32 v51, 0x93, v59
	v_sub_u16_sdwa v32, v31, v30 dst_sel:DWORD dst_unused:UNUSED_PAD src0_sel:DWORD src1_sel:BYTE_1
	v_sub_u16_e32 v18, v1, v18
	v_lshrrev_b16_e32 v74, 10, v51
	v_lshrrev_b16_e32 v32, 1, v32
	v_and_b32_e32 v73, 0xff, v18
	v_mul_lo_u16_e32 v18, 7, v74
	v_and_b32_e32 v32, 0x7f, v32
	v_sub_u16_e32 v18, v59, v18
	v_add_u16_sdwa v30, v32, v30 dst_sel:DWORD dst_unused:UNUSED_PAD src0_sel:DWORD src1_sel:BYTE_1
	v_add_u32_e32 v26, 0x7e, v1
	v_lshlrev_b32_e32 v27, 4, v73
	v_and_b32_e32 v75, 0xff, v18
	v_lshrrev_b16_e32 v30, 2, v30
	s_waitcnt lgkmcnt(0)
	s_barrier
	v_lshlrev_b32_e32 v28, 4, v75
	global_load_dwordx4 v[18:21], v27, s[16:17]
	global_load_dwordx4 v[22:25], v28, s[16:17]
	v_mul_u32_u24_e32 v27, 0x2493, v26
	v_and_b32_e32 v76, 63, v30
	v_lshrrev_b32_e32 v78, 16, v27
	v_mul_lo_u16_e32 v30, 7, v76
	v_mul_lo_u16_e32 v27, 7, v78
	v_sub_u16_e32 v30, v31, v30
	v_sub_u16_e32 v79, v26, v27
	v_and_b32_e32 v80, 0xff, v30
	v_lshlrev_b32_e32 v26, 4, v79
	v_lshlrev_b32_e32 v30, 4, v80
	global_load_dwordx4 v[26:29], v26, s[16:17]
	v_mul_i32_i24_e32 v34, 0xfffffdc0, v1
	global_load_dwordx4 v[30:33], v30, s[16:17]
	v_lshlrev_b32_e32 v52, 4, v58
	v_add3_u32 v50, v38, v34, v52
	ds_read_b128 v[34:37], v50
	ds_read_b128 v[38:41], v50 offset:4032
	ds_read_b128 v[42:45], v50 offset:16128
	;; [unrolled: 1-line block ×5, first 2 shown]
	v_add_u32_e32 v58, 0x2800, v50
	ds_read_b128 v[64:67], v50 offset:28224
	ds_read2_b64 v[68:71], v58 offset0:232 offset1:233
	v_mad_u32_u24 v58, v72, 14, v73
	v_mad_u32_u24 v72, v74, 14, v75
	v_mul_u32_u24_e32 v72, 0x60, v72
	v_add3_u32 v81, 0, v72, v52
	v_mul_u32_u24_e32 v58, 0x60, v58
	v_add3_u32 v58, 0, v58, v52
	v_and_b32_e32 v82, 0xffff, v76
	s_waitcnt lgkmcnt(0)
	s_barrier
	v_lshrrev_b16_e32 v93, 11, v51
	s_movk_i32 s2, 0x54
	v_cmp_gt_u32_e64 s[2:3], s2, v0
	s_waitcnt vmcnt(3)
	v_mul_f64 v[72:73], v[44:45], v[20:21]
	v_mul_f64 v[20:21], v[42:43], v[20:21]
	s_waitcnt vmcnt(2)
	v_mul_f64 v[74:75], v[56:57], v[24:25]
	v_mul_f64 v[24:25], v[54:55], v[24:25]
	v_fmac_f64_e32 v[72:73], v[42:43], v[18:19]
	v_fma_f64 v[20:21], v[44:45], v[18:19], -v[20:21]
	v_fmac_f64_e32 v[74:75], v[54:55], v[22:23]
	v_fma_f64 v[24:25], v[56:57], v[22:23], -v[24:25]
	v_add_f64 v[18:19], v[34:35], -v[72:73]
	v_add_f64 v[20:21], v[36:37], -v[20:21]
	;; [unrolled: 1-line block ×4, first 2 shown]
	v_fma_f64 v[34:35], v[34:35], 2.0, -v[18:19]
	v_fma_f64 v[36:37], v[36:37], 2.0, -v[20:21]
	;; [unrolled: 1-line block ×4, first 2 shown]
	ds_write_b128 v58, v[18:21] offset:672
	ds_write_b128 v58, v[34:37]
	ds_write_b128 v81, v[38:41]
	ds_write_b128 v81, v[22:25] offset:672
	s_waitcnt vmcnt(0)
	v_mul_f64 v[22:23], v[62:63], v[32:33]
	v_mul_f64 v[24:25], v[60:61], v[32:33]
	v_fmac_f64_e32 v[22:23], v[60:61], v[30:31]
	v_fma_f64 v[24:25], v[62:63], v[30:31], -v[24:25]
	v_mad_u32_u24 v34, v82, 14, v80
	v_add_f64 v[22:23], v[46:47], -v[22:23]
	v_add_f64 v[24:25], v[48:49], -v[24:25]
	v_mul_u32_u24_e32 v34, 0x60, v34
	v_mul_f64 v[76:77], v[66:67], v[28:29]
	v_mul_f64 v[28:29], v[64:65], v[28:29]
	v_fma_f64 v[30:31], v[46:47], 2.0, -v[22:23]
	v_fma_f64 v[32:33], v[48:49], 2.0, -v[24:25]
	v_add3_u32 v34, 0, v34, v52
	v_fmac_f64_e32 v[76:77], v[64:65], v[26:27]
	v_fma_f64 v[28:29], v[66:67], v[26:27], -v[28:29]
	ds_write_b128 v34, v[30:33]
	ds_write_b128 v34, v[22:25] offset:672
	v_mad_u32_u24 v22, v78, 14, v79
	v_add_f64 v[26:27], v[68:69], -v[76:77]
	v_add_f64 v[28:29], v[70:71], -v[28:29]
	v_mul_u32_u24_e32 v22, 0x60, v22
	v_fma_f64 v[18:19], v[68:69], 2.0, -v[26:27]
	v_fma_f64 v[20:21], v[70:71], 2.0, -v[28:29]
	v_add3_u32 v22, 0, v22, v52
	v_lshrrev_b16_e32 v58, 9, v53
	ds_write_b128 v22, v[18:21]
	ds_write_b128 v22, v[26:29] offset:672
	v_mul_lo_u16_e32 v18, 14, v58
	v_sub_u16_e32 v18, v1, v18
	v_mul_lo_u16_e32 v27, 14, v93
	v_and_b32_e32 v92, 0xff, v18
	v_sub_u16_e32 v27, v59, v27
	v_mul_u32_u24_e32 v18, 3, v92
	v_and_b32_e32 v94, 0xff, v27
	v_lshlrev_b32_e32 v26, 4, v18
	v_mul_u32_u24_e32 v30, 3, v94
	s_waitcnt lgkmcnt(0)
	s_barrier
	global_load_dwordx4 v[18:21], v26, s[16:17] offset:128
	global_load_dwordx4 v[22:25], v26, s[16:17] offset:112
	v_lshlrev_b32_e32 v42, 4, v30
	global_load_dwordx4 v[26:29], v26, s[16:17] offset:144
	s_nop 0
	global_load_dwordx4 v[30:33], v42, s[16:17] offset:112
	global_load_dwordx4 v[34:37], v42, s[16:17] offset:128
	;; [unrolled: 1-line block ×3, first 2 shown]
	ds_read_b128 v[42:45], v50
	ds_read_b128 v[46:49], v50 offset:4032
	ds_read_b128 v[54:57], v50 offset:8064
	;; [unrolled: 1-line block ×7, first 2 shown]
	s_waitcnt lgkmcnt(0)
	s_barrier
	s_waitcnt vmcnt(5)
	v_mul_f64 v[82:83], v[66:67], v[20:21]
	s_waitcnt vmcnt(4)
	v_mul_f64 v[80:81], v[56:57], v[24:25]
	v_mul_f64 v[24:25], v[54:55], v[24:25]
	;; [unrolled: 1-line block ×3, first 2 shown]
	s_waitcnt vmcnt(3)
	v_mul_f64 v[84:85], v[74:75], v[28:29]
	v_mul_f64 v[28:29], v[72:73], v[28:29]
	s_waitcnt vmcnt(2)
	v_mul_f64 v[86:87], v[62:63], v[32:33]
	v_mul_f64 v[32:33], v[60:61], v[32:33]
	;; [unrolled: 3-line block ×4, first 2 shown]
	v_fmac_f64_e32 v[80:81], v[54:55], v[22:23]
	v_fma_f64 v[22:23], v[56:57], v[22:23], -v[24:25]
	v_fmac_f64_e32 v[82:83], v[64:65], v[18:19]
	v_fma_f64 v[18:19], v[66:67], v[18:19], -v[20:21]
	;; [unrolled: 2-line block ×6, first 2 shown]
	v_add_f64 v[34:35], v[42:43], -v[82:83]
	v_add_f64 v[18:19], v[44:45], -v[18:19]
	;; [unrolled: 1-line block ×8, first 2 shown]
	v_fma_f64 v[38:39], v[42:43], 2.0, -v[34:35]
	v_fma_f64 v[40:41], v[44:45], 2.0, -v[18:19]
	;; [unrolled: 1-line block ×4, first 2 shown]
	v_add_f64 v[26:27], v[34:35], v[20:21]
	v_add_f64 v[28:29], v[18:19], -v[30:31]
	v_fma_f64 v[42:43], v[46:47], 2.0, -v[54:55]
	v_fma_f64 v[44:45], v[48:49], 2.0, -v[56:57]
	v_fma_f64 v[20:21], v[86:87], 2.0, -v[60:61]
	v_add_f64 v[30:31], v[38:39], -v[32:33]
	v_add_f64 v[32:33], v[40:41], -v[22:23]
	v_fma_f64 v[22:23], v[24:25], 2.0, -v[62:63]
	v_fma_f64 v[36:37], v[18:19], 2.0, -v[28:29]
	v_add_f64 v[18:19], v[42:43], -v[20:21]
	v_add_f64 v[20:21], v[44:45], -v[22:23]
	v_add_f64 v[22:23], v[54:55], v[62:63]
	v_fma_f64 v[46:47], v[54:55], 2.0, -v[22:23]
	v_mad_u32_u24 v54, v58, 56, v92
	v_mul_u32_u24_e32 v54, 0x60, v54
	v_fma_f64 v[38:39], v[38:39], 2.0, -v[30:31]
	v_fma_f64 v[40:41], v[40:41], 2.0, -v[32:33]
	v_add3_u32 v54, 0, v54, v52
	v_fma_f64 v[34:35], v[34:35], 2.0, -v[26:27]
	ds_write_b128 v54, v[38:41]
	ds_write_b128 v54, v[34:37] offset:1344
	ds_write_b128 v54, v[30:33] offset:2688
	;; [unrolled: 1-line block ×3, first 2 shown]
	v_mad_u32_u24 v26, v93, 56, v94
	v_add_f64 v[24:25], v[56:57], -v[60:61]
	v_mul_u32_u24_e32 v26, 0x60, v26
	v_fma_f64 v[42:43], v[42:43], 2.0, -v[18:19]
	v_fma_f64 v[44:45], v[44:45], 2.0, -v[20:21]
	v_fma_f64 v[48:49], v[56:57], 2.0, -v[24:25]
	v_add3_u32 v26, 0, v26, v52
	ds_write_b128 v26, v[42:45]
	ds_write_b128 v26, v[46:49] offset:1344
	ds_write_b128 v26, v[18:21] offset:2688
	ds_write_b128 v26, v[22:25] offset:4032
	s_waitcnt lgkmcnt(0)
	s_barrier
	ds_read_b128 v[26:29], v50
	ds_read_b128 v[46:49], v50 offset:5376
	ds_read_b128 v[42:45], v50 offset:10752
	;; [unrolled: 1-line block ×5, first 2 shown]
	s_and_saveexec_b64 s[18:19], s[2:3]
	s_cbranch_execz .LBB0_38
; %bb.37:
	v_add_u32_e32 v6, 0xfc0, v50
	ds_read_b128 v[22:25], v50 offset:9408
	ds_read_b128 v[10:13], v50 offset:14784
	;; [unrolled: 1-line block ×4, first 2 shown]
	ds_read_b128 v[18:21], v6
	ds_read_b128 v[6:9], v50 offset:30912
.LBB0_38:
	s_or_b64 exec, exec, s[18:19]
	v_lshrrev_b16_e32 v53, 11, v53
	v_mul_lo_u16_e32 v54, 56, v53
	v_sub_u16_e32 v54, v1, v54
	v_and_b32_e32 v56, 0xff, v54
	s_movk_i32 s24, 0x50
	v_mov_b64_e32 v[54:55], s[16:17]
	v_mad_u64_u32 v[76:77], s[18:19], v56, s24, v[54:55]
	global_load_dwordx4 v[54:57], v[76:77], off offset:784
	global_load_dwordx4 v[60:63], v[76:77], off offset:800
	;; [unrolled: 1-line block ×5, first 2 shown]
	s_movk_i32 s22, 0x118
	v_mad_u32_u24 v1, v53, s22, v1
	v_mul_u32_u24_e32 v1, 0x60, v1
	v_add3_u32 v1, 0, v1, v52
	s_load_dwordx2 s[0:1], s[0:1], 0x58
	s_mov_b32 s20, 0xe8584caa
	s_mov_b32 s21, 0xbfebb67a
	;; [unrolled: 1-line block ×4, first 2 shown]
	s_waitcnt lgkmcnt(0)
	s_barrier
	s_waitcnt vmcnt(4)
	v_mul_f64 v[52:53], v[48:49], v[56:57]
	v_mul_f64 v[56:57], v[46:47], v[56:57]
	s_waitcnt vmcnt(3)
	v_mul_f64 v[76:77], v[44:45], v[62:63]
	s_waitcnt vmcnt(2)
	v_mul_f64 v[78:79], v[40:41], v[66:67]
	v_mul_f64 v[66:67], v[38:39], v[66:67]
	s_waitcnt vmcnt(1)
	v_mul_f64 v[80:81], v[36:37], v[70:71]
	s_waitcnt vmcnt(0)
	v_mul_f64 v[82:83], v[32:33], v[74:75]
	v_mul_f64 v[74:75], v[30:31], v[74:75]
	;; [unrolled: 1-line block ×4, first 2 shown]
	v_fmac_f64_e32 v[52:53], v[46:47], v[54:55]
	v_fma_f64 v[46:47], v[48:49], v[54:55], -v[56:57]
	v_fmac_f64_e32 v[76:77], v[42:43], v[60:61]
	v_fmac_f64_e32 v[78:79], v[38:39], v[64:65]
	v_fma_f64 v[38:39], v[40:41], v[64:65], -v[66:67]
	v_fmac_f64_e32 v[80:81], v[34:35], v[68:69]
	v_fmac_f64_e32 v[82:83], v[30:31], v[72:73]
	v_fma_f64 v[30:31], v[32:33], v[72:73], -v[74:75]
	v_fma_f64 v[42:43], v[44:45], v[60:61], -v[62:63]
	;; [unrolled: 1-line block ×3, first 2 shown]
	v_add_f64 v[36:37], v[76:77], v[80:81]
	v_add_f64 v[60:61], v[38:39], -v[30:31]
	v_add_f64 v[62:63], v[46:47], v[38:39]
	v_add_f64 v[38:39], v[38:39], v[30:31]
	;; [unrolled: 1-line block ×3, first 2 shown]
	v_add_f64 v[40:41], v[42:43], -v[34:35]
	v_add_f64 v[44:45], v[28:29], v[42:43]
	v_add_f64 v[42:43], v[42:43], v[34:35]
	v_add_f64 v[54:55], v[52:53], v[78:79]
	v_add_f64 v[56:57], v[78:79], v[82:83]
	v_add_f64 v[64:65], v[78:79], -v[82:83]
	v_fmac_f64_e32 v[26:27], -0.5, v[36:37]
	v_fmac_f64_e32 v[46:47], -0.5, v[38:39]
	v_add_f64 v[48:49], v[76:77], -v[80:81]
	v_add_f64 v[36:37], v[44:45], v[34:35]
	v_fmac_f64_e32 v[28:29], -0.5, v[42:43]
	v_add_f64 v[34:35], v[54:55], v[82:83]
	v_fmac_f64_e32 v[52:53], -0.5, v[56:57]
	v_fma_f64 v[54:55], s[20:21], v[40:41], v[26:27]
	v_fmac_f64_e32 v[26:27], s[18:19], v[40:41]
	v_fma_f64 v[40:41], s[18:19], v[64:65], v[46:47]
	v_fmac_f64_e32 v[46:47], s[20:21], v[64:65]
	v_add_f64 v[66:67], v[32:33], v[80:81]
	v_add_f64 v[42:43], v[62:63], v[30:31]
	v_fma_f64 v[56:57], s[18:19], v[48:49], v[28:29]
	v_fmac_f64_e32 v[28:29], s[20:21], v[48:49]
	v_fma_f64 v[38:39], s[20:21], v[60:61], v[52:53]
	v_fmac_f64_e32 v[52:53], s[18:19], v[60:61]
	v_mul_f64 v[48:49], v[40:41], s[20:21]
	v_mul_f64 v[60:61], v[46:47], s[20:21]
	v_mul_f64 v[62:63], v[40:41], 0.5
	v_mul_f64 v[64:65], v[46:47], -0.5
	v_add_f64 v[30:31], v[66:67], v[34:35]
	v_add_f64 v[32:33], v[36:37], v[42:43]
	v_fmac_f64_e32 v[48:49], 0.5, v[38:39]
	v_fmac_f64_e32 v[60:61], -0.5, v[52:53]
	v_fmac_f64_e32 v[62:63], s[18:19], v[38:39]
	v_fmac_f64_e32 v[64:65], s[18:19], v[52:53]
	v_add_f64 v[34:35], v[66:67], -v[34:35]
	v_add_f64 v[36:37], v[36:37], -v[42:43]
	v_add_f64 v[38:39], v[54:55], v[48:49]
	v_add_f64 v[42:43], v[26:27], v[60:61]
	v_add_f64 v[40:41], v[56:57], v[62:63]
	v_add_f64 v[44:45], v[28:29], v[64:65]
	v_add_f64 v[46:47], v[54:55], -v[48:49]
	v_add_f64 v[26:27], v[26:27], -v[60:61]
	;; [unrolled: 1-line block ×4, first 2 shown]
	ds_write_b128 v1, v[30:33]
	ds_write_b128 v1, v[38:41] offset:5376
	ds_write_b128 v1, v[42:45] offset:10752
	;; [unrolled: 1-line block ×5, first 2 shown]
	s_and_saveexec_b64 s[22:23], s[2:3]
	s_cbranch_execz .LBB0_40
; %bb.39:
	v_lshrrev_b16_e32 v1, 13, v51
	v_mul_lo_u16_e32 v1, 56, v1
	v_sub_u16_e32 v1, v59, v1
	v_mul_hi_u32_u24_sdwa v27, v1, s24 dst_sel:DWORD dst_unused:UNUSED_PAD src0_sel:BYTE_0 src1_sel:DWORD
	v_mul_u32_u24_sdwa v26, v1, s24 dst_sel:DWORD dst_unused:UNUSED_PAD src0_sel:BYTE_0 src1_sel:DWORD
	v_lshl_add_u64 v[46:47], s[16:17], 0, v[26:27]
	global_load_dwordx4 v[26:29], v[46:47], off offset:800
	global_load_dwordx4 v[30:33], v[46:47], off offset:832
	;; [unrolled: 1-line block ×5, first 2 shown]
	s_waitcnt vmcnt(4)
	v_mul_f64 v[46:47], v[10:11], v[28:29]
	s_waitcnt vmcnt(3)
	v_mul_f64 v[48:49], v[2:3], v[32:33]
	v_mul_f64 v[32:33], v[4:5], v[32:33]
	s_waitcnt vmcnt(2)
	v_mul_f64 v[52:53], v[14:15], v[36:37]
	s_waitcnt vmcnt(1)
	v_mul_f64 v[54:55], v[6:7], v[40:41]
	v_mul_f64 v[36:37], v[16:17], v[36:37]
	;; [unrolled: 1-line block ×4, first 2 shown]
	s_waitcnt vmcnt(0)
	v_mul_f64 v[56:57], v[24:25], v[44:45]
	v_mul_f64 v[44:45], v[22:23], v[44:45]
	v_fma_f64 v[12:13], v[12:13], v[26:27], -v[46:47]
	v_fma_f64 v[4:5], v[4:5], v[30:31], -v[48:49]
	v_fmac_f64_e32 v[32:33], v[2:3], v[30:31]
	v_fma_f64 v[2:3], v[16:17], v[34:35], -v[52:53]
	v_fma_f64 v[8:9], v[8:9], v[38:39], -v[54:55]
	v_fmac_f64_e32 v[36:37], v[14:15], v[34:35]
	v_fmac_f64_e32 v[40:41], v[6:7], v[38:39]
	;; [unrolled: 1-line block ×4, first 2 shown]
	v_fma_f64 v[6:7], v[24:25], v[42:43], -v[44:45]
	v_add_f64 v[10:11], v[12:13], v[4:5]
	v_add_f64 v[22:23], v[36:37], v[40:41]
	;; [unrolled: 1-line block ×3, first 2 shown]
	v_add_f64 v[14:15], v[28:29], -v[32:33]
	v_add_f64 v[16:17], v[2:3], -v[8:9]
	;; [unrolled: 1-line block ×3, first 2 shown]
	v_add_f64 v[30:31], v[20:21], v[12:13]
	v_add_f64 v[2:3], v[6:7], v[2:3]
	;; [unrolled: 1-line block ×5, first 2 shown]
	v_fma_f64 v[10:11], -0.5, v[10:11], v[20:21]
	v_fma_f64 v[20:21], -0.5, v[22:23], v[56:57]
	;; [unrolled: 1-line block ×3, first 2 shown]
	v_add_f64 v[6:7], v[30:31], v[4:5]
	v_add_f64 v[8:9], v[2:3], v[8:9]
	v_fma_f64 v[18:19], -0.5, v[34:35], v[18:19]
	v_add_f64 v[24:25], v[28:29], v[32:33]
	v_add_f64 v[28:29], v[36:37], v[40:41]
	v_fma_f64 v[34:35], s[20:21], v[26:27], v[22:23]
	v_fmac_f64_e32 v[22:23], s[18:19], v[26:27]
	v_add_f64 v[12:13], v[12:13], -v[4:5]
	v_fma_f64 v[32:33], s[18:19], v[16:17], v[20:21]
	v_fmac_f64_e32 v[20:21], s[20:21], v[16:17]
	v_add_f64 v[4:5], v[6:7], -v[8:9]
	v_add_f64 v[2:3], v[24:25], -v[28:29]
	v_add_f64 v[8:9], v[6:7], v[8:9]
	v_add_f64 v[6:7], v[24:25], v[28:29]
	v_mul_f64 v[16:17], v[22:23], 0.5
	v_mul_f64 v[24:25], v[34:35], s[20:21]
	v_mul_f64 v[22:23], v[22:23], s[20:21]
	v_fma_f64 v[30:31], s[20:21], v[14:15], v[10:11]
	v_fmac_f64_e32 v[10:11], s[18:19], v[14:15]
	v_fma_f64 v[14:15], s[18:19], v[12:13], v[18:19]
	v_fmac_f64_e32 v[18:19], s[20:21], v[12:13]
	v_mul_f64 v[12:13], v[34:35], -0.5
	v_fmac_f64_e32 v[16:17], s[18:19], v[20:21]
	v_fmac_f64_e32 v[24:25], -0.5, v[32:33]
	v_fmac_f64_e32 v[22:23], 0.5, v[20:21]
	ds_write_b128 v50, v[6:9] offset:4032
	ds_write_b128 v50, v[2:5] offset:20160
	v_fmac_f64_e32 v[12:13], s[18:19], v[32:33]
	v_add_f64 v[8:9], v[10:11], -v[16:17]
	v_add_f64 v[2:3], v[14:15], -v[24:25]
	v_add_f64 v[16:17], v[10:11], v[16:17]
	v_add_f64 v[10:11], v[14:15], v[24:25]
	;; [unrolled: 1-line block ×3, first 2 shown]
	v_add_f64 v[4:5], v[30:31], -v[12:13]
	v_add_f64 v[6:7], v[18:19], -v[22:23]
	v_add_f64 v[12:13], v[30:31], v[12:13]
	ds_write_b128 v50, v[14:17] offset:9408
	ds_write_b128 v50, v[10:13] offset:14784
	ds_write_b128 v50, v[6:9] offset:25536
	ds_write_b128 v50, v[2:5] offset:30912
.LBB0_40:
	s_or_b64 exec, exec, s[22:23]
	s_mul_i32 s2, s6, s13
	s_mul_hi_u32 s3, s6, s15
	s_add_i32 s2, s3, s2
	s_mul_i32 s3, s7, s15
	s_mul_i32 s9, s9, s12
	s_mul_hi_u32 s13, s8, s12
	s_add_i32 s2, s2, s3
	s_mul_i32 s3, s6, s15
	s_add_i32 s13, s13, s9
	s_mul_i32 s8, s8, s12
	s_add_u32 s3, s8, s3
	s_addc_u32 s8, s13, s2
	s_mul_i32 s2, s11, s14
	s_mul_hi_u32 s9, s10, s14
	s_add_i32 s9, s9, s2
	s_mul_i32 s2, s10, s14
	s_add_u32 s2, s2, s3
	s_addc_u32 s3, s9, s8
	s_andn2_b64 vcc, exec, vcc
	s_mov_b64 s[8:9], -1
	s_waitcnt lgkmcnt(0)
	s_barrier
	s_cbranch_vccz .LBB0_43
; %bb.41:
	s_and_b64 vcc, exec, s[8:9]
	s_cbranch_vccnz .LBB0_46
.LBB0_42:
	s_endpgm
.LBB0_43:
	s_lshl_b64 s[8:9], s[2:3], 4
	s_add_u32 s8, s0, s8
	s_addc_u32 s9, s1, s9
	s_mov_b64 s[10:11], 0
	s_movk_i32 s12, 0x7df
	v_mov_b32_e32 v1, v0
.LBB0_44:                               ; =>This Inner Loop Header: Depth=1
	v_lshrrev_b16_e32 v2, 4, v1
	v_mul_u32_u24_e32 v2, 0xc31, v2
	v_lshrrev_b32_e32 v4, 16, v2
	v_mul_lo_u16_e32 v2, 0x150, v4
	v_mad_u64_u32 v[6:7], s[14:15], s6, v4, 0
	v_sub_u16_e32 v11, v1, v2
	v_mov_b32_e32 v2, v7
	v_mad_u64_u32 v[2:3], s[14:15], s7, v4, v[2:3]
	v_mad_legacy_u16 v3, v11, 6, v4
	v_mad_u64_u32 v[8:9], s[14:15], s4, v11, 0
	v_mov_b32_e32 v7, v2
	v_lshl_add_u32 v2, v3, 4, 0
	v_mov_b32_e32 v10, v9
	ds_read_b128 v[2:5], v2
	v_mad_u64_u32 v[10:11], s[14:15], s5, v11, v[10:11]
	v_add_u32_e32 v1, 0xfc, v1
	v_mov_b32_e32 v9, v10
	v_cmp_lt_u32_e32 vcc, s12, v1
	v_lshl_add_u64 v[8:9], v[8:9], 4, s[8:9]
	s_or_b64 s[10:11], vcc, s[10:11]
	v_lshl_add_u64 v[6:7], v[6:7], 4, v[8:9]
	s_waitcnt lgkmcnt(0)
	global_store_dwordx4 v[6:7], v[2:5], off
	s_andn2_b64 exec, exec, s[10:11]
	s_cbranch_execnz .LBB0_44
; %bb.45:
	s_or_b64 exec, exec, s[10:11]
	s_branch .LBB0_42
.LBB0_46:
	v_and_b32_e32 v1, 0xffff, v0
	v_mad_u64_u32 v[2:3], s[8:9], s4, v1, 0
	v_mov_b32_e32 v4, v3
	s_lshl_b64 s[2:3], s[2:3], 4
	v_mad_u64_u32 v[4:5], s[8:9], s5, v1, v[4:5]
	s_add_u32 s0, s0, s2
	v_mov_b32_e32 v3, v4
	s_addc_u32 s1, s1, s3
	v_lshl_add_u64 v[10:11], v[2:3], 4, s[0:1]
	v_add_u16_e32 v2, 0xfc, v0
	v_mul_u32_u24_e32 v3, 0x187, v2
	v_mul_lo_u16_e32 v1, 6, v0
	v_lshrrev_b32_e32 v12, 17, v3
	v_lshl_add_u32 v1, v1, 4, 0
	v_mul_lo_u16_e32 v3, 0x150, v12
	v_sub_u16_e32 v13, v2, v3
	ds_read_b128 v[2:5], v1
	v_mul_lo_u16_e32 v6, 6, v13
	v_or_b32_e32 v1, v6, v12
	v_and_b32_e32 v1, 0xffff, v1
	v_lshl_add_u32 v1, v1, 4, 0
	s_waitcnt lgkmcnt(0)
	global_store_dwordx4 v[10:11], v[2:5], off
	ds_read_b128 v[6:9], v1
	v_mul_lo_u32 v1, s7, v12
	v_mad_u64_u32 v[2:3], s[2:3], s4, v13, 0
	v_mov_b32_e32 v4, v3
	v_mad_u64_u32 v[4:5], s[2:3], s5, v13, v[4:5]
	v_mov_b32_e32 v3, v4
	v_mad_u64_u32 v[4:5], s[2:3], s6, v12, 0
	v_or_b32_e32 v5, v5, v1
	v_lshl_add_u64 v[2:3], v[2:3], 4, s[0:1]
	s_mov_b32 s2, 0x2f401f8
	v_lshl_add_u64 v[2:3], v[4:5], 4, v[2:3]
	v_pk_add_u16 v1, v0, s2 op_sel_hi:[0,1]
	s_waitcnt lgkmcnt(0)
	global_store_dwordx4 v[2:3], v[6:9], off
	v_and_b32_e32 v2, 0x3ff, v1
	s_movk_i32 s9, 0x619
	v_mul_u32_u24_e32 v2, 0x619, v2
	v_lshrrev_b32_e32 v8, 19, v2
	v_mul_u32_u24_sdwa v2, v1, s9 dst_sel:DWORD dst_unused:UNUSED_PAD src0_sel:WORD_1 src1_sel:DWORD
	v_lshrrev_b32_e32 v12, 19, v2
	s_mov_b32 s10, 0x5040100
	s_movk_i32 s8, 0x150
	v_perm_b32 v9, v12, v8, s10
	v_pk_mul_lo_u16 v2, v9, s8 op_sel_hi:[1,0]
	v_mad_u64_u32 v[6:7], s[2:3], s6, v8, 0
	v_pk_sub_i16 v1, v1, v2
	s_nop 0
	v_and_b32_e32 v5, 0xffff, v1
	v_mad_u64_u32 v[2:3], s[2:3], s4, v5, 0
	v_mov_b32_e32 v4, v3
	v_mad_u64_u32 v[4:5], s[2:3], s5, v5, v[4:5]
	v_mov_b32_e32 v3, v4
	v_mov_b32_e32 v4, v7
	v_mad_u64_u32 v[4:5], s[2:3], s7, v8, v[4:5]
	v_pk_mad_u16 v13, v1, 6, v9 op_sel_hi:[1,0,1]
	v_mov_b32_e32 v7, v4
	v_and_b32_e32 v4, 0xffff, v13
	v_lshl_add_u32 v4, v4, 4, 0
	v_lshl_add_u64 v[8:9], v[2:3], 4, s[0:1]
	ds_read_b128 v[2:5], v4
	v_lshl_add_u64 v[10:11], v[6:7], 4, v[8:9]
	v_bfe_u32 v6, v13, 16, 16
	v_lshl_add_u32 v6, v6, 4, 0
	ds_read_b128 v[6:9], v6
	v_lshrrev_b32_e32 v1, 16, v1
	s_waitcnt lgkmcnt(1)
	global_store_dwordx4 v[10:11], v[2:5], off
	s_nop 1
	v_mad_u64_u32 v[2:3], s[2:3], s4, v1, 0
	v_mov_b32_e32 v4, v3
	v_mad_u64_u32 v[4:5], s[2:3], s5, v1, v[4:5]
	v_mov_b32_e32 v3, v4
	;; [unrolled: 2-line block ×4, first 2 shown]
	v_lshl_add_u64 v[2:3], v[2:3], 4, s[0:1]
	s_mov_b32 s2, 0x4ec03f0
	v_lshl_add_u64 v[2:3], v[4:5], 4, v[2:3]
	v_pk_add_u16 v1, v0, s2 op_sel_hi:[0,1]
	s_waitcnt lgkmcnt(0)
	global_store_dwordx4 v[2:3], v[6:9], off
	v_and_b32_e32 v2, 0x7ff, v1
	v_mul_u32_u24_e32 v2, 0x619, v2
	v_lshrrev_b32_e32 v8, 19, v2
	v_mul_u32_u24_sdwa v2, v1, s9 dst_sel:DWORD dst_unused:UNUSED_PAD src0_sel:WORD_1 src1_sel:DWORD
	v_lshrrev_b32_e32 v12, 19, v2
	v_perm_b32 v9, v12, v8, s10
	v_pk_mul_lo_u16 v2, v9, s8 op_sel_hi:[1,0]
	v_mad_u64_u32 v[6:7], s[2:3], s6, v8, 0
	v_pk_sub_i16 v1, v1, v2
	s_nop 0
	v_and_b32_e32 v5, 0xffff, v1
	v_mad_u64_u32 v[2:3], s[2:3], s4, v5, 0
	v_mov_b32_e32 v4, v3
	v_mad_u64_u32 v[4:5], s[2:3], s5, v5, v[4:5]
	v_mov_b32_e32 v3, v4
	v_mov_b32_e32 v4, v7
	v_mad_u64_u32 v[4:5], s[2:3], s7, v8, v[4:5]
	v_pk_mad_u16 v13, v1, 6, v9 op_sel_hi:[1,0,1]
	v_mov_b32_e32 v7, v4
	v_and_b32_e32 v4, 0xffff, v13
	v_lshl_add_u32 v4, v4, 4, 0
	v_lshl_add_u64 v[8:9], v[2:3], 4, s[0:1]
	ds_read_b128 v[2:5], v4
	v_lshl_add_u64 v[10:11], v[6:7], 4, v[8:9]
	v_bfe_u32 v6, v13, 16, 16
	v_lshl_add_u32 v6, v6, 4, 0
	ds_read_b128 v[6:9], v6
	v_lshrrev_b32_e32 v1, 16, v1
	s_waitcnt lgkmcnt(1)
	global_store_dwordx4 v[10:11], v[2:5], off
	s_nop 1
	v_mad_u64_u32 v[2:3], s[2:3], s4, v1, 0
	v_mov_b32_e32 v4, v3
	v_mad_u64_u32 v[4:5], s[2:3], s5, v1, v[4:5]
	v_mov_b32_e32 v3, v4
	;; [unrolled: 2-line block ×3, first 2 shown]
	v_mad_u64_u32 v[10:11], s[2:3], s7, v12, v[10:11]
	s_mov_b32 s2, 0x6e405e8
	s_nop 0
	v_pk_add_u16 v0, v0, s2 op_sel_hi:[0,1]
	v_mov_b32_e32 v5, v10
	v_lshl_add_u64 v[2:3], v[2:3], 4, s[0:1]
	v_and_b32_e32 v1, 0x7ff, v0
	v_lshl_add_u64 v[2:3], v[4:5], 4, v[2:3]
	v_mul_u32_u24_e32 v1, 0x619, v1
	s_waitcnt lgkmcnt(0)
	global_store_dwordx4 v[2:3], v[6:9], off
	s_nop 1
	v_lshrrev_b32_e32 v6, 19, v1
	v_mul_u32_u24_sdwa v1, v0, s9 dst_sel:DWORD dst_unused:UNUSED_PAD src0_sel:WORD_1 src1_sel:DWORD
	v_lshrrev_b32_e32 v10, 19, v1
	v_perm_b32 v7, v10, v6, s10
	v_pk_mul_lo_u16 v1, v7, s8 op_sel_hi:[1,0]
	v_mad_u64_u32 v[4:5], s[2:3], s6, v6, 0
	v_pk_sub_i16 v11, v0, v1
	s_nop 0
	v_and_b32_e32 v3, 0xffff, v11
	v_mad_u64_u32 v[0:1], s[2:3], s4, v3, 0
	v_mov_b32_e32 v2, v1
	v_mad_u64_u32 v[2:3], s[2:3], s5, v3, v[2:3]
	v_mov_b32_e32 v1, v2
	v_mov_b32_e32 v2, v5
	v_mad_u64_u32 v[2:3], s[2:3], s7, v6, v[2:3]
	v_pk_mad_u16 v12, v11, 6, v7 op_sel_hi:[1,0,1]
	v_mov_b32_e32 v5, v2
	v_and_b32_e32 v2, 0xffff, v12
	v_lshl_add_u32 v2, v2, 4, 0
	v_lshl_add_u64 v[6:7], v[0:1], 4, s[0:1]
	ds_read_b128 v[0:3], v2
	v_lshl_add_u64 v[8:9], v[4:5], 4, v[6:7]
	v_bfe_u32 v4, v12, 16, 16
	v_lshl_add_u32 v4, v4, 4, 0
	ds_read_b128 v[4:7], v4
	s_waitcnt lgkmcnt(1)
	global_store_dwordx4 v[8:9], v[0:3], off
	s_nop 1
	v_lshrrev_b32_e32 v3, 16, v11
	v_mad_u64_u32 v[0:1], s[2:3], s4, v3, 0
	v_mov_b32_e32 v2, v1
	v_mad_u64_u32 v[2:3], s[2:3], s5, v3, v[2:3]
	v_mov_b32_e32 v1, v2
	;; [unrolled: 2-line block ×4, first 2 shown]
	v_lshl_add_u64 v[0:1], v[0:1], 4, s[0:1]
	v_lshl_add_u64 v[0:1], v[2:3], 4, v[0:1]
	s_waitcnt lgkmcnt(0)
	global_store_dwordx4 v[0:1], v[4:7], off
	s_endpgm
	.section	.rodata,"a",@progbits
	.p2align	6, 0x0
	.amdhsa_kernel fft_rtc_back_len336_factors_7_2_4_6_wgs_252_tpt_42_dim3_dp_op_CI_CI_sbcr_dirReg_intrinsicReadWrite
		.amdhsa_group_segment_fixed_size 0
		.amdhsa_private_segment_fixed_size 0
		.amdhsa_kernarg_size 96
		.amdhsa_user_sgpr_count 2
		.amdhsa_user_sgpr_dispatch_ptr 0
		.amdhsa_user_sgpr_queue_ptr 0
		.amdhsa_user_sgpr_kernarg_segment_ptr 1
		.amdhsa_user_sgpr_dispatch_id 0
		.amdhsa_user_sgpr_kernarg_preload_length 0
		.amdhsa_user_sgpr_kernarg_preload_offset 0
		.amdhsa_user_sgpr_private_segment_size 0
		.amdhsa_uses_dynamic_stack 0
		.amdhsa_enable_private_segment 0
		.amdhsa_system_sgpr_workgroup_id_x 1
		.amdhsa_system_sgpr_workgroup_id_y 0
		.amdhsa_system_sgpr_workgroup_id_z 0
		.amdhsa_system_sgpr_workgroup_info 0
		.amdhsa_system_vgpr_workitem_id 0
		.amdhsa_next_free_vgpr 95
		.amdhsa_next_free_sgpr 30
		.amdhsa_accum_offset 96
		.amdhsa_reserve_vcc 1
		.amdhsa_float_round_mode_32 0
		.amdhsa_float_round_mode_16_64 0
		.amdhsa_float_denorm_mode_32 3
		.amdhsa_float_denorm_mode_16_64 3
		.amdhsa_dx10_clamp 1
		.amdhsa_ieee_mode 1
		.amdhsa_fp16_overflow 0
		.amdhsa_tg_split 0
		.amdhsa_exception_fp_ieee_invalid_op 0
		.amdhsa_exception_fp_denorm_src 0
		.amdhsa_exception_fp_ieee_div_zero 0
		.amdhsa_exception_fp_ieee_overflow 0
		.amdhsa_exception_fp_ieee_underflow 0
		.amdhsa_exception_fp_ieee_inexact 0
		.amdhsa_exception_int_div_zero 0
	.end_amdhsa_kernel
	.text
.Lfunc_end0:
	.size	fft_rtc_back_len336_factors_7_2_4_6_wgs_252_tpt_42_dim3_dp_op_CI_CI_sbcr_dirReg_intrinsicReadWrite, .Lfunc_end0-fft_rtc_back_len336_factors_7_2_4_6_wgs_252_tpt_42_dim3_dp_op_CI_CI_sbcr_dirReg_intrinsicReadWrite
                                        ; -- End function
	.section	.AMDGPU.csdata,"",@progbits
; Kernel info:
; codeLenInByte = 7760
; NumSgprs: 36
; NumVgprs: 95
; NumAgprs: 0
; TotalNumVgprs: 95
; ScratchSize: 0
; MemoryBound: 0
; FloatMode: 240
; IeeeMode: 1
; LDSByteSize: 0 bytes/workgroup (compile time only)
; SGPRBlocks: 4
; VGPRBlocks: 11
; NumSGPRsForWavesPerEU: 36
; NumVGPRsForWavesPerEU: 95
; AccumOffset: 96
; Occupancy: 5
; WaveLimiterHint : 1
; COMPUTE_PGM_RSRC2:SCRATCH_EN: 0
; COMPUTE_PGM_RSRC2:USER_SGPR: 2
; COMPUTE_PGM_RSRC2:TRAP_HANDLER: 0
; COMPUTE_PGM_RSRC2:TGID_X_EN: 1
; COMPUTE_PGM_RSRC2:TGID_Y_EN: 0
; COMPUTE_PGM_RSRC2:TGID_Z_EN: 0
; COMPUTE_PGM_RSRC2:TIDIG_COMP_CNT: 0
; COMPUTE_PGM_RSRC3_GFX90A:ACCUM_OFFSET: 23
; COMPUTE_PGM_RSRC3_GFX90A:TG_SPLIT: 0
	.text
	.p2alignl 6, 3212836864
	.fill 256, 4, 3212836864
	.type	__hip_cuid_3e2b85c7e354970b,@object ; @__hip_cuid_3e2b85c7e354970b
	.section	.bss,"aw",@nobits
	.globl	__hip_cuid_3e2b85c7e354970b
__hip_cuid_3e2b85c7e354970b:
	.byte	0                               ; 0x0
	.size	__hip_cuid_3e2b85c7e354970b, 1

	.ident	"AMD clang version 19.0.0git (https://github.com/RadeonOpenCompute/llvm-project roc-6.4.0 25133 c7fe45cf4b819c5991fe208aaa96edf142730f1d)"
	.section	".note.GNU-stack","",@progbits
	.addrsig
	.addrsig_sym __hip_cuid_3e2b85c7e354970b
	.amdgpu_metadata
---
amdhsa.kernels:
  - .agpr_count:     0
    .args:
      - .actual_access:  read_only
        .address_space:  global
        .offset:         0
        .size:           8
        .value_kind:     global_buffer
      - .actual_access:  read_only
        .address_space:  global
        .offset:         8
        .size:           8
        .value_kind:     global_buffer
      - .actual_access:  read_only
        .address_space:  global
        .offset:         16
        .size:           8
        .value_kind:     global_buffer
      - .actual_access:  read_only
        .address_space:  global
        .offset:         24
        .size:           8
        .value_kind:     global_buffer
      - .offset:         32
        .size:           8
        .value_kind:     by_value
      - .actual_access:  read_only
        .address_space:  global
        .offset:         40
        .size:           8
        .value_kind:     global_buffer
      - .actual_access:  read_only
        .address_space:  global
        .offset:         48
        .size:           8
        .value_kind:     global_buffer
      - .offset:         56
        .size:           4
        .value_kind:     by_value
      - .actual_access:  read_only
        .address_space:  global
        .offset:         64
        .size:           8
        .value_kind:     global_buffer
      - .actual_access:  read_only
        .address_space:  global
        .offset:         72
        .size:           8
        .value_kind:     global_buffer
      - .actual_access:  read_only
        .address_space:  global
        .offset:         80
        .size:           8
        .value_kind:     global_buffer
      - .actual_access:  write_only
        .address_space:  global
        .offset:         88
        .size:           8
        .value_kind:     global_buffer
    .group_segment_fixed_size: 0
    .kernarg_segment_align: 8
    .kernarg_segment_size: 96
    .language:       OpenCL C
    .language_version:
      - 2
      - 0
    .max_flat_workgroup_size: 252
    .name:           fft_rtc_back_len336_factors_7_2_4_6_wgs_252_tpt_42_dim3_dp_op_CI_CI_sbcr_dirReg_intrinsicReadWrite
    .private_segment_fixed_size: 0
    .sgpr_count:     36
    .sgpr_spill_count: 0
    .symbol:         fft_rtc_back_len336_factors_7_2_4_6_wgs_252_tpt_42_dim3_dp_op_CI_CI_sbcr_dirReg_intrinsicReadWrite.kd
    .uniform_work_group_size: 1
    .uses_dynamic_stack: false
    .vgpr_count:     95
    .vgpr_spill_count: 0
    .wavefront_size: 64
amdhsa.target:   amdgcn-amd-amdhsa--gfx950
amdhsa.version:
  - 1
  - 2
...

	.end_amdgpu_metadata
